;; amdgpu-corpus repo=ROCm/rocFFT kind=compiled arch=gfx1201 opt=O3
	.text
	.amdgcn_target "amdgcn-amd-amdhsa--gfx1201"
	.amdhsa_code_object_version 6
	.protected	fft_rtc_fwd_len1210_factors_2_5_11_11_wgs_110_tpt_110_halfLds_sp_op_CI_CI_unitstride_sbrr_dirReg ; -- Begin function fft_rtc_fwd_len1210_factors_2_5_11_11_wgs_110_tpt_110_halfLds_sp_op_CI_CI_unitstride_sbrr_dirReg
	.globl	fft_rtc_fwd_len1210_factors_2_5_11_11_wgs_110_tpt_110_halfLds_sp_op_CI_CI_unitstride_sbrr_dirReg
	.p2align	8
	.type	fft_rtc_fwd_len1210_factors_2_5_11_11_wgs_110_tpt_110_halfLds_sp_op_CI_CI_unitstride_sbrr_dirReg,@function
fft_rtc_fwd_len1210_factors_2_5_11_11_wgs_110_tpt_110_halfLds_sp_op_CI_CI_unitstride_sbrr_dirReg: ; @fft_rtc_fwd_len1210_factors_2_5_11_11_wgs_110_tpt_110_halfLds_sp_op_CI_CI_unitstride_sbrr_dirReg
; %bb.0:
	s_clause 0x2
	s_load_b128 s[8:11], s[0:1], 0x0
	s_load_b128 s[4:7], s[0:1], 0x58
	;; [unrolled: 1-line block ×3, first 2 shown]
	v_mul_u32_u24_e32 v1, 0x254, v0
	v_mov_b32_e32 v3, 0
	s_delay_alu instid0(VALU_DEP_2) | instskip(NEXT) | instid1(VALU_DEP_1)
	v_lshrrev_b32_e32 v1, 16, v1
	v_add_nc_u32_e32 v5, ttmp9, v1
	v_mov_b32_e32 v1, 0
	v_mov_b32_e32 v2, 0
	;; [unrolled: 1-line block ×3, first 2 shown]
	s_wait_kmcnt 0x0
	v_cmp_lt_u64_e64 s2, s[10:11], 2
	s_delay_alu instid0(VALU_DEP_1)
	s_and_b32 vcc_lo, exec_lo, s2
	s_cbranch_vccnz .LBB0_8
; %bb.1:
	s_load_b64 s[2:3], s[0:1], 0x10
	v_mov_b32_e32 v1, 0
	v_mov_b32_e32 v2, 0
	s_add_nc_u64 s[16:17], s[14:15], 8
	s_add_nc_u64 s[18:19], s[12:13], 8
	s_mov_b64 s[20:21], 1
	s_delay_alu instid0(VALU_DEP_1)
	v_dual_mov_b32 v21, v2 :: v_dual_mov_b32 v20, v1
	s_wait_kmcnt 0x0
	s_add_nc_u64 s[22:23], s[2:3], 8
	s_mov_b32 s3, 0
.LBB0_2:                                ; =>This Inner Loop Header: Depth=1
	s_load_b64 s[24:25], s[22:23], 0x0
                                        ; implicit-def: $vgpr23_vgpr24
	s_mov_b32 s2, exec_lo
	s_wait_kmcnt 0x0
	v_or_b32_e32 v4, s25, v6
	s_delay_alu instid0(VALU_DEP_1)
	v_cmpx_ne_u64_e32 0, v[3:4]
	s_wait_alu 0xfffe
	s_xor_b32 s26, exec_lo, s2
	s_cbranch_execz .LBB0_4
; %bb.3:                                ;   in Loop: Header=BB0_2 Depth=1
	s_cvt_f32_u32 s2, s24
	s_cvt_f32_u32 s27, s25
	s_sub_nc_u64 s[30:31], 0, s[24:25]
	s_wait_alu 0xfffe
	s_delay_alu instid0(SALU_CYCLE_1) | instskip(SKIP_1) | instid1(SALU_CYCLE_2)
	s_fmamk_f32 s2, s27, 0x4f800000, s2
	s_wait_alu 0xfffe
	v_s_rcp_f32 s2, s2
	s_delay_alu instid0(TRANS32_DEP_1) | instskip(SKIP_1) | instid1(SALU_CYCLE_2)
	s_mul_f32 s2, s2, 0x5f7ffffc
	s_wait_alu 0xfffe
	s_mul_f32 s27, s2, 0x2f800000
	s_wait_alu 0xfffe
	s_delay_alu instid0(SALU_CYCLE_2) | instskip(SKIP_1) | instid1(SALU_CYCLE_2)
	s_trunc_f32 s27, s27
	s_wait_alu 0xfffe
	s_fmamk_f32 s2, s27, 0xcf800000, s2
	s_cvt_u32_f32 s29, s27
	s_wait_alu 0xfffe
	s_delay_alu instid0(SALU_CYCLE_1) | instskip(SKIP_1) | instid1(SALU_CYCLE_2)
	s_cvt_u32_f32 s28, s2
	s_wait_alu 0xfffe
	s_mul_u64 s[34:35], s[30:31], s[28:29]
	s_wait_alu 0xfffe
	s_mul_hi_u32 s37, s28, s35
	s_mul_i32 s36, s28, s35
	s_mul_hi_u32 s2, s28, s34
	s_mul_i32 s33, s29, s34
	s_wait_alu 0xfffe
	s_add_nc_u64 s[36:37], s[2:3], s[36:37]
	s_mul_hi_u32 s27, s29, s34
	s_mul_hi_u32 s38, s29, s35
	s_add_co_u32 s2, s36, s33
	s_wait_alu 0xfffe
	s_add_co_ci_u32 s2, s37, s27
	s_mul_i32 s34, s29, s35
	s_add_co_ci_u32 s35, s38, 0
	s_wait_alu 0xfffe
	s_add_nc_u64 s[34:35], s[2:3], s[34:35]
	s_wait_alu 0xfffe
	v_add_co_u32 v4, s2, s28, s34
	s_delay_alu instid0(VALU_DEP_1) | instskip(SKIP_1) | instid1(VALU_DEP_1)
	s_cmp_lg_u32 s2, 0
	s_add_co_ci_u32 s29, s29, s35
	v_readfirstlane_b32 s28, v4
	s_wait_alu 0xfffe
	s_delay_alu instid0(VALU_DEP_1)
	s_mul_u64 s[30:31], s[30:31], s[28:29]
	s_wait_alu 0xfffe
	s_mul_hi_u32 s35, s28, s31
	s_mul_i32 s34, s28, s31
	s_mul_hi_u32 s2, s28, s30
	s_mul_i32 s33, s29, s30
	s_wait_alu 0xfffe
	s_add_nc_u64 s[34:35], s[2:3], s[34:35]
	s_mul_hi_u32 s27, s29, s30
	s_mul_hi_u32 s28, s29, s31
	s_wait_alu 0xfffe
	s_add_co_u32 s2, s34, s33
	s_add_co_ci_u32 s2, s35, s27
	s_mul_i32 s30, s29, s31
	s_add_co_ci_u32 s31, s28, 0
	s_wait_alu 0xfffe
	s_add_nc_u64 s[30:31], s[2:3], s[30:31]
	s_wait_alu 0xfffe
	v_add_co_u32 v4, s2, v4, s30
	s_delay_alu instid0(VALU_DEP_1) | instskip(SKIP_1) | instid1(VALU_DEP_1)
	s_cmp_lg_u32 s2, 0
	s_add_co_ci_u32 s2, s29, s31
	v_mul_hi_u32 v13, v5, v4
	s_wait_alu 0xfffe
	v_mad_co_u64_u32 v[7:8], null, v5, s2, 0
	v_mad_co_u64_u32 v[9:10], null, v6, v4, 0
	;; [unrolled: 1-line block ×3, first 2 shown]
	s_delay_alu instid0(VALU_DEP_3) | instskip(SKIP_1) | instid1(VALU_DEP_4)
	v_add_co_u32 v4, vcc_lo, v13, v7
	s_wait_alu 0xfffd
	v_add_co_ci_u32_e32 v7, vcc_lo, 0, v8, vcc_lo
	s_delay_alu instid0(VALU_DEP_2) | instskip(SKIP_1) | instid1(VALU_DEP_2)
	v_add_co_u32 v4, vcc_lo, v4, v9
	s_wait_alu 0xfffd
	v_add_co_ci_u32_e32 v4, vcc_lo, v7, v10, vcc_lo
	s_wait_alu 0xfffd
	v_add_co_ci_u32_e32 v7, vcc_lo, 0, v12, vcc_lo
	s_delay_alu instid0(VALU_DEP_2) | instskip(SKIP_1) | instid1(VALU_DEP_2)
	v_add_co_u32 v4, vcc_lo, v4, v11
	s_wait_alu 0xfffd
	v_add_co_ci_u32_e32 v9, vcc_lo, 0, v7, vcc_lo
	s_delay_alu instid0(VALU_DEP_2) | instskip(SKIP_1) | instid1(VALU_DEP_3)
	v_mul_lo_u32 v10, s25, v4
	v_mad_co_u64_u32 v[7:8], null, s24, v4, 0
	v_mul_lo_u32 v11, s24, v9
	s_delay_alu instid0(VALU_DEP_2) | instskip(NEXT) | instid1(VALU_DEP_2)
	v_sub_co_u32 v7, vcc_lo, v5, v7
	v_add3_u32 v8, v8, v11, v10
	s_delay_alu instid0(VALU_DEP_1) | instskip(SKIP_1) | instid1(VALU_DEP_1)
	v_sub_nc_u32_e32 v10, v6, v8
	s_wait_alu 0xfffd
	v_subrev_co_ci_u32_e64 v10, s2, s25, v10, vcc_lo
	v_add_co_u32 v11, s2, v4, 2
	s_wait_alu 0xf1ff
	v_add_co_ci_u32_e64 v12, s2, 0, v9, s2
	v_sub_co_u32 v13, s2, v7, s24
	v_sub_co_ci_u32_e32 v8, vcc_lo, v6, v8, vcc_lo
	s_wait_alu 0xf1ff
	v_subrev_co_ci_u32_e64 v10, s2, 0, v10, s2
	s_delay_alu instid0(VALU_DEP_3) | instskip(NEXT) | instid1(VALU_DEP_3)
	v_cmp_le_u32_e32 vcc_lo, s24, v13
	v_cmp_eq_u32_e64 s2, s25, v8
	s_wait_alu 0xfffd
	v_cndmask_b32_e64 v13, 0, -1, vcc_lo
	v_cmp_le_u32_e32 vcc_lo, s25, v10
	s_wait_alu 0xfffd
	v_cndmask_b32_e64 v14, 0, -1, vcc_lo
	v_cmp_le_u32_e32 vcc_lo, s24, v7
	;; [unrolled: 3-line block ×3, first 2 shown]
	s_wait_alu 0xfffd
	v_cndmask_b32_e64 v15, 0, -1, vcc_lo
	v_cmp_eq_u32_e32 vcc_lo, s25, v10
	s_wait_alu 0xf1ff
	s_delay_alu instid0(VALU_DEP_2)
	v_cndmask_b32_e64 v7, v15, v7, s2
	s_wait_alu 0xfffd
	v_cndmask_b32_e32 v10, v14, v13, vcc_lo
	v_add_co_u32 v13, vcc_lo, v4, 1
	s_wait_alu 0xfffd
	v_add_co_ci_u32_e32 v14, vcc_lo, 0, v9, vcc_lo
	s_delay_alu instid0(VALU_DEP_3) | instskip(SKIP_2) | instid1(VALU_DEP_3)
	v_cmp_ne_u32_e32 vcc_lo, 0, v10
	s_wait_alu 0xfffd
	v_cndmask_b32_e32 v10, v13, v11, vcc_lo
	v_cndmask_b32_e32 v8, v14, v12, vcc_lo
	v_cmp_ne_u32_e32 vcc_lo, 0, v7
	s_wait_alu 0xfffd
	s_delay_alu instid0(VALU_DEP_2)
	v_dual_cndmask_b32 v23, v4, v10 :: v_dual_cndmask_b32 v24, v9, v8
.LBB0_4:                                ;   in Loop: Header=BB0_2 Depth=1
	s_wait_alu 0xfffe
	s_and_not1_saveexec_b32 s2, s26
	s_cbranch_execz .LBB0_6
; %bb.5:                                ;   in Loop: Header=BB0_2 Depth=1
	v_cvt_f32_u32_e32 v4, s24
	s_sub_co_i32 s26, 0, s24
	v_mov_b32_e32 v24, v3
	s_delay_alu instid0(VALU_DEP_2) | instskip(NEXT) | instid1(TRANS32_DEP_1)
	v_rcp_iflag_f32_e32 v4, v4
	v_mul_f32_e32 v4, 0x4f7ffffe, v4
	s_delay_alu instid0(VALU_DEP_1) | instskip(SKIP_1) | instid1(VALU_DEP_1)
	v_cvt_u32_f32_e32 v4, v4
	s_wait_alu 0xfffe
	v_mul_lo_u32 v7, s26, v4
	s_delay_alu instid0(VALU_DEP_1) | instskip(NEXT) | instid1(VALU_DEP_1)
	v_mul_hi_u32 v7, v4, v7
	v_add_nc_u32_e32 v4, v4, v7
	s_delay_alu instid0(VALU_DEP_1) | instskip(NEXT) | instid1(VALU_DEP_1)
	v_mul_hi_u32 v4, v5, v4
	v_mul_lo_u32 v7, v4, s24
	v_add_nc_u32_e32 v8, 1, v4
	s_delay_alu instid0(VALU_DEP_2) | instskip(NEXT) | instid1(VALU_DEP_1)
	v_sub_nc_u32_e32 v7, v5, v7
	v_subrev_nc_u32_e32 v9, s24, v7
	v_cmp_le_u32_e32 vcc_lo, s24, v7
	s_wait_alu 0xfffd
	s_delay_alu instid0(VALU_DEP_2) | instskip(NEXT) | instid1(VALU_DEP_1)
	v_dual_cndmask_b32 v7, v7, v9 :: v_dual_cndmask_b32 v4, v4, v8
	v_cmp_le_u32_e32 vcc_lo, s24, v7
	s_delay_alu instid0(VALU_DEP_2) | instskip(SKIP_1) | instid1(VALU_DEP_1)
	v_add_nc_u32_e32 v8, 1, v4
	s_wait_alu 0xfffd
	v_cndmask_b32_e32 v23, v4, v8, vcc_lo
.LBB0_6:                                ;   in Loop: Header=BB0_2 Depth=1
	s_wait_alu 0xfffe
	s_or_b32 exec_lo, exec_lo, s2
	v_mul_lo_u32 v4, v24, s24
	s_delay_alu instid0(VALU_DEP_2)
	v_mul_lo_u32 v9, v23, s25
	s_load_b64 s[26:27], s[18:19], 0x0
	v_mad_co_u64_u32 v[7:8], null, v23, s24, 0
	s_load_b64 s[24:25], s[16:17], 0x0
	s_add_nc_u64 s[20:21], s[20:21], 1
	s_add_nc_u64 s[16:17], s[16:17], 8
	s_wait_alu 0xfffe
	v_cmp_ge_u64_e64 s2, s[20:21], s[10:11]
	s_add_nc_u64 s[18:19], s[18:19], 8
	s_add_nc_u64 s[22:23], s[22:23], 8
	v_add3_u32 v4, v8, v9, v4
	v_sub_co_u32 v5, vcc_lo, v5, v7
	s_wait_alu 0xfffd
	s_delay_alu instid0(VALU_DEP_2) | instskip(SKIP_2) | instid1(VALU_DEP_1)
	v_sub_co_ci_u32_e32 v4, vcc_lo, v6, v4, vcc_lo
	s_and_b32 vcc_lo, exec_lo, s2
	s_wait_kmcnt 0x0
	v_mul_lo_u32 v6, s26, v4
	v_mul_lo_u32 v7, s27, v5
	v_mad_co_u64_u32 v[1:2], null, s26, v5, v[1:2]
	v_mul_lo_u32 v4, s24, v4
	v_mul_lo_u32 v8, s25, v5
	v_mad_co_u64_u32 v[20:21], null, s24, v5, v[20:21]
	s_delay_alu instid0(VALU_DEP_4) | instskip(NEXT) | instid1(VALU_DEP_2)
	v_add3_u32 v2, v7, v2, v6
	v_add3_u32 v21, v8, v21, v4
	s_wait_alu 0xfffe
	s_cbranch_vccnz .LBB0_9
; %bb.7:                                ;   in Loop: Header=BB0_2 Depth=1
	v_dual_mov_b32 v5, v23 :: v_dual_mov_b32 v6, v24
	s_branch .LBB0_2
.LBB0_8:
	v_dual_mov_b32 v21, v2 :: v_dual_mov_b32 v20, v1
	v_dual_mov_b32 v24, v6 :: v_dual_mov_b32 v23, v5
.LBB0_9:
	s_load_b64 s[0:1], s[0:1], 0x28
	v_mul_hi_u32 v4, 0x253c826, v0
	s_lshl_b64 s[10:11], s[10:11], 3
                                        ; implicit-def: $vgpr45
	s_wait_alu 0xfffe
	s_add_nc_u64 s[2:3], s[14:15], s[10:11]
                                        ; implicit-def: $sgpr14
                                        ; implicit-def: $sgpr15
	s_wait_kmcnt 0x0
	v_cmp_gt_u64_e32 vcc_lo, s[0:1], v[23:24]
	v_cmp_le_u64_e64 s0, s[0:1], v[23:24]
	s_delay_alu instid0(VALU_DEP_1)
	s_and_saveexec_b32 s1, s0
	s_wait_alu 0xfffe
	s_xor_b32 s0, exec_lo, s1
; %bb.10:
	v_mul_u32_u24_e32 v1, 0x6e, v4
	s_mov_b32 s15, 0
	s_mov_b32 s14, 0
                                        ; implicit-def: $vgpr4
	s_delay_alu instid0(VALU_DEP_1)
	v_sub_nc_u32_e32 v45, v0, v1
                                        ; implicit-def: $vgpr0
                                        ; implicit-def: $vgpr1_vgpr2
; %bb.11:
	s_wait_alu 0xfffe
	s_or_saveexec_b32 s1, s0
	s_load_b64 s[2:3], s[2:3], 0x0
	v_dual_mov_b32 v18, s15 :: v_dual_mov_b32 v17, s15
	v_mov_b32_e32 v22, s14
                                        ; implicit-def: $vgpr3
                                        ; implicit-def: $vgpr38
                                        ; implicit-def: $vgpr26
                                        ; implicit-def: $vgpr32
                                        ; implicit-def: $vgpr28
                                        ; implicit-def: $vgpr36
                                        ; implicit-def: $vgpr30
                                        ; implicit-def: $vgpr34
                                        ; implicit-def: $vgpr44
                                        ; implicit-def: $vgpr40
                                        ; implicit-def: $vgpr42
	s_xor_b32 exec_lo, exec_lo, s1
	s_cbranch_execz .LBB0_15
; %bb.12:
	s_add_nc_u64 s[10:11], s[12:13], s[10:11]
	v_lshlrev_b64_e32 v[1:2], 3, v[1:2]
	s_load_b64 s[10:11], s[10:11], 0x0
	v_mov_b32_e32 v18, 0
                                        ; implicit-def: $vgpr43
	v_mov_b32_e32 v17, 0
	s_wait_kmcnt 0x0
	v_mul_lo_u32 v3, s11, v23
	v_mul_lo_u32 v7, s10, v24
	v_mad_co_u64_u32 v[5:6], null, s10, v23, 0
	s_delay_alu instid0(VALU_DEP_1) | instskip(SKIP_1) | instid1(VALU_DEP_2)
	v_add3_u32 v6, v6, v7, v3
	v_mul_u32_u24_e32 v7, 0x6e, v4
	v_lshlrev_b64_e32 v[3:4], 3, v[5:6]
	s_delay_alu instid0(VALU_DEP_2) | instskip(NEXT) | instid1(VALU_DEP_2)
	v_sub_nc_u32_e32 v45, v0, v7
	v_add_co_u32 v0, s0, s4, v3
	s_wait_alu 0xf1ff
	s_delay_alu instid0(VALU_DEP_3) | instskip(NEXT) | instid1(VALU_DEP_3)
	v_add_co_ci_u32_e64 v3, s0, s5, v4, s0
	v_lshlrev_b32_e32 v4, 3, v45
	s_delay_alu instid0(VALU_DEP_3) | instskip(SKIP_1) | instid1(VALU_DEP_3)
	v_add_co_u32 v0, s0, v0, v1
	s_wait_alu 0xf1ff
	v_add_co_ci_u32_e64 v1, s0, v3, v2, s0
	s_mov_b32 s4, exec_lo
	s_delay_alu instid0(VALU_DEP_2) | instskip(SKIP_1) | instid1(VALU_DEP_2)
	v_add_co_u32 v0, s0, v0, v4
	s_wait_alu 0xf1ff
	v_add_co_ci_u32_e64 v1, s0, 0, v1, s0
	s_clause 0x9
	global_load_b64 v[31:32], v[0:1], off offset:5720
	global_load_b64 v[35:36], v[0:1], off offset:6600
	global_load_b64 v[2:3], v[0:1], off
	global_load_b64 v[25:26], v[0:1], off offset:880
	global_load_b64 v[27:28], v[0:1], off offset:1760
	;; [unrolled: 1-line block ×7, first 2 shown]
	v_cmpx_gt_u32_e32 55, v45
; %bb.13:
	s_clause 0x1
	global_load_b64 v[17:18], v[0:1], off offset:4400
	global_load_b64 v[43:44], v[0:1], off offset:9240
; %bb.14:
	s_wait_alu 0xfffe
	s_or_b32 exec_lo, exec_lo, s4
	v_mov_b32_e32 v22, v45
.LBB0_15:
	s_or_b32 exec_lo, exec_lo, s1
	s_wait_loadcnt 0x0
	v_sub_f32_e32 v13, v33, v39
	v_lshl_add_u32 v19, v45, 3, 0
	v_sub_f32_e32 v1, v2, v37
	v_sub_f32_e32 v7, v25, v31
	;; [unrolled: 1-line block ×4, first 2 shown]
	v_fma_f32 v12, v33, 2.0, -v13
	v_add_nc_u32_e32 v35, 0x6e, v45
	v_add_nc_u32_e32 v33, 0xdc, v45
	;; [unrolled: 1-line block ×3, first 2 shown]
	v_fma_f32 v0, v2, 2.0, -v1
	v_add_nc_u32_e32 v2, 0x226, v45
	v_sub_f32_e32 v11, v29, v41
	v_fma_f32 v6, v25, 2.0, -v7
	v_fma_f32 v8, v27, 2.0, -v9
	;; [unrolled: 1-line block ×3, first 2 shown]
	v_lshl_add_u32 v27, v35, 3, 0
	v_lshl_add_u32 v25, v33, 3, 0
	v_cmp_gt_u32_e64 s1, 55, v45
	v_lshl_add_u32 v2, v2, 3, 0
	v_fma_f32 v10, v29, 2.0, -v11
	ds_store_b64 v19, v[0:1]
	ds_store_b64 v27, v[6:7]
	;; [unrolled: 1-line block ×3, first 2 shown]
	ds_store_2addr_b64 v14, v[10:11], v[12:13] offset0:74 offset1:184
	s_and_saveexec_b32 s0, s1
	s_cbranch_execz .LBB0_17
; %bb.16:
	ds_store_b64 v2, v[4:5]
.LBB0_17:
	s_wait_alu 0xfffe
	s_or_b32 exec_lo, exec_lo, s0
	v_lshlrev_b32_e32 v0, 2, v45
	global_wb scope:SCOPE_SE
	s_wait_dscnt 0x0
	s_wait_kmcnt 0x0
	s_barrier_signal -1
	s_barrier_wait -1
	global_inv scope:SCOPE_SE
	v_sub_nc_u32_e32 v1, v19, v0
	v_sub_nc_u32_e32 v0, 0, v0
	v_add_nc_u32_e32 v31, 0xa50, v19
	v_add_nc_u32_e32 v29, 0xdc0, v19
	v_cmp_gt_u32_e64 s0, 22, v45
	v_add_nc_u32_e32 v8, 0x200, v1
	v_add_nc_u32_e32 v9, 0x600, v1
	;; [unrolled: 1-line block ×4, first 2 shown]
	ds_load_2addr_b32 v[6:7], v1 offset1:110
	ds_load_2addr_b32 v[14:15], v8 offset0:114 offset1:224
	ds_load_2addr_b32 v[12:13], v9 offset0:100 offset1:210
	ds_load_2addr_b32 v[10:11], v10 offset0:86 offset1:196
	ds_load_2addr_b32 v[8:9], v16 offset0:72 offset1:182
	v_add_nc_u32_e32 v39, v19, v0
                                        ; implicit-def: $vgpr41
                                        ; implicit-def: $vgpr17
	s_and_saveexec_b32 s4, s0
	s_cbranch_execz .LBB0_19
; %bb.18:
	s_delay_alu instid0(VALU_DEP_1)
	v_add_nc_u32_e32 v0, 0x340, v39
	v_add_nc_u32_e32 v1, 0xb00, v39
	ds_load_2addr_b32 v[4:5], v0 offset0:12 offset1:254
	ds_load_2addr_b32 v[16:17], v1 offset1:242
	ds_load_b32 v41, v39 offset:4752
.LBB0_19:
	s_wait_alu 0xfffe
	s_or_b32 exec_lo, exec_lo, s4
	v_sub_f32_e32 v37, v3, v38
	v_sub_f32_e32 v1, v18, v44
	;; [unrolled: 1-line block ×6, first 2 shown]
	v_fma_f32 v36, v3, 2.0, -v37
	v_fma_f32 v0, v18, 2.0, -v1
	;; [unrolled: 1-line block ×6, first 2 shown]
	global_wb scope:SCOPE_SE
	s_wait_dscnt 0x0
	s_barrier_signal -1
	s_barrier_wait -1
	global_inv scope:SCOPE_SE
	ds_store_b64 v19, v[36:37]
	ds_store_b64 v27, v[42:43]
	ds_store_b64 v25, v[46:47]
	ds_store_b64 v31, v[48:49]
	ds_store_b64 v29, v[50:51]
	s_and_saveexec_b32 s4, s1
	s_cbranch_execz .LBB0_21
; %bb.20:
	ds_store_b64 v2, v[0:1]
.LBB0_21:
	s_wait_alu 0xfffe
	s_or_b32 exec_lo, exec_lo, s4
	v_add_nc_u32_e32 v18, 0x200, v39
	v_add_nc_u32_e32 v19, 0x600, v39
	;; [unrolled: 1-line block ×4, first 2 shown]
	global_wb scope:SCOPE_SE
	s_wait_dscnt 0x0
	s_barrier_signal -1
	s_barrier_wait -1
	global_inv scope:SCOPE_SE
	ds_load_2addr_b32 v[2:3], v39 offset1:110
	ds_load_2addr_b32 v[29:30], v18 offset0:114 offset1:224
	ds_load_2addr_b32 v[27:28], v19 offset0:100 offset1:210
	;; [unrolled: 1-line block ×4, first 2 shown]
                                        ; implicit-def: $vgpr36
                                        ; implicit-def: $vgpr32
	s_and_saveexec_b32 s1, s0
	s_cbranch_execz .LBB0_23
; %bb.22:
	v_add_nc_u32_e32 v0, 0x340, v39
	v_add_nc_u32_e32 v31, 0xb00, v39
	ds_load_2addr_b32 v[0:1], v0 offset0:12 offset1:254
	ds_load_2addr_b32 v[31:32], v31 offset1:242
	ds_load_b32 v36, v39 offset:4752
.LBB0_23:
	s_wait_alu 0xfffe
	s_or_b32 exec_lo, exec_lo, s1
	v_and_b32_e32 v37, 1, v45
	v_lshrrev_b32_e32 v35, 1, v35
	v_lshrrev_b32_e32 v38, 1, v33
	s_delay_alu instid0(VALU_DEP_3) | instskip(NEXT) | instid1(VALU_DEP_3)
	v_lshlrev_b32_e32 v34, 5, v37
	v_mul_u32_u24_e32 v35, 10, v35
	s_clause 0x1
	global_load_b128 v[54:57], v34, s[8:9]
	global_load_b128 v[58:61], v34, s[8:9] offset:16
	v_lshrrev_b32_e32 v34, 1, v45
	global_wb scope:SCOPE_SE
	s_wait_loadcnt_dscnt 0x0
	s_barrier_signal -1
	s_barrier_wait -1
	global_inv scope:SCOPE_SE
	v_mul_u32_u24_e32 v34, 10, v34
	v_mul_f32_e32 v43, v14, v55
	v_mul_f32_e32 v46, v29, v55
	s_delay_alu instid0(VALU_DEP_3)
	v_or_b32_e32 v33, v34, v37
	v_or_b32_e32 v34, v35, v37
	v_dual_mul_f32 v62, v27, v57 :: v_dual_mul_f32 v63, v25, v59
	v_dual_mul_f32 v44, v12, v57 :: v_dual_mul_f32 v65, v30, v55
	;; [unrolled: 1-line block ×3, first 2 shown]
	v_mul_f32_e32 v64, v18, v61
	v_dual_mul_f32 v42, v8, v61 :: v_dual_mul_f32 v67, v26, v59
	v_dual_mul_f32 v66, v28, v57 :: v_dual_mul_f32 v35, v11, v59
	;; [unrolled: 1-line block ×3, first 2 shown]
	v_lshl_add_u32 v52, v33, 2, 0
	v_lshl_add_u32 v51, v34, 2, 0
	v_dual_mul_f32 v33, v15, v55 :: v_dual_mul_f32 v34, v13, v57
	v_dual_mul_f32 v47, v5, v55 :: v_dual_mul_f32 v48, v16, v57
	v_dual_mul_f32 v55, v31, v57 :: v_dual_fmac_f32 v40, v25, v58
	v_mul_f32_e32 v57, v32, v59
	v_dual_mul_f32 v49, v17, v59 :: v_dual_fmac_f32 v44, v27, v56
	v_dual_fmac_f32 v43, v29, v54 :: v_dual_fmac_f32 v34, v28, v56
	v_fma_f32 v29, v12, v56, -v62
	v_fma_f32 v27, v10, v58, -v63
	v_dual_mul_f32 v59, v36, v61 :: v_dual_fmac_f32 v42, v18, v60
	v_dual_mul_f32 v50, v41, v61 :: v_dual_fmac_f32 v33, v30, v54
	v_fma_f32 v14, v14, v54, -v46
	v_fma_f32 v25, v8, v60, -v64
	;; [unrolled: 1-line block ×6, first 2 shown]
	v_fmac_f32_e32 v53, v19, v60
	v_dual_fmac_f32 v47, v1, v54 :: v_dual_fmac_f32 v50, v36, v60
	v_fma_f32 v1, v16, v56, -v55
	v_dual_add_f32 v16, v29, v27 :: v_dual_fmac_f32 v35, v26, v58
	v_fmac_f32_e32 v48, v31, v56
	v_fma_f32 v8, v17, v58, -v57
	v_dual_fmac_f32 v49, v32, v58 :: v_dual_sub_f32 v26, v25, v27
	v_dual_add_f32 v15, v6, v14 :: v_dual_sub_f32 v18, v44, v40
	v_dual_sub_f32 v17, v43, v42 :: v_dual_add_f32 v28, v14, v25
	v_dual_sub_f32 v19, v14, v29 :: v_dual_sub_f32 v30, v29, v14
	v_dual_sub_f32 v31, v27, v25 :: v_dual_add_f32 v36, v10, v11
	v_add_f32_e32 v32, v7, v12
	v_dual_add_f32 v56, v12, v13 :: v_dual_sub_f32 v57, v10, v12
	v_fma_f32 v16, -0.5, v16, v6
	v_fma_f32 v5, v5, v54, -v69
	v_fma_f32 v9, v41, v60, -v59
	v_dual_sub_f32 v41, v33, v53 :: v_dual_sub_f32 v46, v34, v35
	v_dual_add_f32 v15, v15, v29 :: v_dual_sub_f32 v54, v12, v10
	v_dual_sub_f32 v55, v13, v11 :: v_dual_sub_f32 v58, v11, v13
	v_dual_add_f32 v19, v19, v26 :: v_dual_add_f32 v26, v30, v31
	v_fma_f32 v6, -0.5, v28, v6
	v_add_f32_e32 v28, v32, v10
	v_fma_f32 v30, -0.5, v36, v7
	v_dual_fmac_f32 v7, -0.5, v56 :: v_dual_fmamk_f32 v36, v17, 0x3f737871, v16
	v_dual_add_f32 v31, v54, v55 :: v_dual_add_f32 v32, v57, v58
	v_dual_add_f32 v15, v15, v27 :: v_dual_fmamk_f32 v54, v18, 0xbf737871, v6
	s_delay_alu instid0(VALU_DEP_4)
	v_dual_add_f32 v28, v28, v11 :: v_dual_fmamk_f32 v55, v41, 0x3f737871, v30
	v_fmac_f32_e32 v6, 0x3f737871, v18
	v_fmac_f32_e32 v16, 0xbf737871, v17
	v_fmamk_f32 v56, v46, 0xbf737871, v7
	v_fmac_f32_e32 v7, 0x3f737871, v46
	v_fmac_f32_e32 v30, 0xbf737871, v41
	v_dual_fmac_f32 v36, 0x3f167918, v18 :: v_dual_add_f32 v15, v15, v25
	v_dual_fmac_f32 v54, 0x3f167918, v17 :: v_dual_fmac_f32 v55, 0x3f167918, v46
	v_fmac_f32_e32 v6, 0xbf167918, v17
	v_dual_fmac_f32 v16, 0xbf167918, v18 :: v_dual_fmac_f32 v7, 0xbf167918, v41
	v_fmac_f32_e32 v56, 0x3f167918, v41
	v_fmac_f32_e32 v30, 0xbf167918, v46
	;; [unrolled: 1-line block ×3, first 2 shown]
	v_dual_fmac_f32 v54, 0x3e9e377a, v26 :: v_dual_fmac_f32 v55, 0x3e9e377a, v31
	v_fmac_f32_e32 v6, 0x3e9e377a, v26
	v_dual_fmac_f32 v16, 0x3e9e377a, v19 :: v_dual_add_f32 v17, v28, v13
	v_fmac_f32_e32 v56, 0x3e9e377a, v32
	v_dual_fmac_f32 v7, 0x3e9e377a, v32 :: v_dual_fmac_f32 v30, 0x3e9e377a, v31
	ds_store_2addr_b32 v52, v15, v36 offset1:2
	ds_store_2addr_b32 v52, v54, v6 offset0:4 offset1:6
	ds_store_b32 v52, v16 offset:32
	ds_store_2addr_b32 v51, v17, v55 offset1:2
	ds_store_2addr_b32 v51, v56, v7 offset0:4 offset1:6
	ds_store_b32 v51, v30 offset:32
	s_and_saveexec_b32 s1, s0
	s_cbranch_execz .LBB0_25
; %bb.24:
	v_dual_sub_f32 v7, v1, v5 :: v_dual_sub_f32 v18, v47, v50
	v_dual_sub_f32 v15, v8, v9 :: v_dual_sub_f32 v26, v9, v8
	v_add_f32_e32 v6, v5, v9
	v_dual_sub_f32 v16, v48, v49 :: v_dual_add_f32 v17, v1, v8
	s_delay_alu instid0(VALU_DEP_3) | instskip(SKIP_1) | instid1(VALU_DEP_4)
	v_add_f32_e32 v7, v7, v15
	v_mul_u32_u24_e32 v30, 10, v38
	v_fma_f32 v6, -0.5, v6, v4
	v_sub_f32_e32 v19, v5, v1
	v_fma_f32 v17, -0.5, v17, v4
	v_add_f32_e32 v4, v4, v5
	s_delay_alu instid0(VALU_DEP_3) | instskip(NEXT) | instid1(VALU_DEP_3)
	v_dual_fmamk_f32 v28, v16, 0x3f737871, v6 :: v_dual_add_f32 v19, v19, v26
	v_dual_fmac_f32 v6, 0xbf737871, v16 :: v_dual_fmamk_f32 v15, v18, 0xbf737871, v17
	s_delay_alu instid0(VALU_DEP_3) | instskip(SKIP_1) | instid1(VALU_DEP_3)
	v_dual_fmac_f32 v17, 0x3f737871, v18 :: v_dual_add_f32 v4, v4, v1
	v_or_b32_e32 v26, v30, v37
	v_fmac_f32_e32 v6, 0x3f167918, v18
	s_delay_alu instid0(VALU_DEP_4) | instskip(NEXT) | instid1(VALU_DEP_4)
	v_dual_fmac_f32 v28, 0xbf167918, v18 :: v_dual_fmac_f32 v15, 0xbf167918, v16
	v_fmac_f32_e32 v17, 0x3f167918, v16
	v_add_f32_e32 v4, v4, v8
	v_lshl_add_u32 v16, v26, 2, 0
	s_delay_alu instid0(VALU_DEP_4) | instskip(SKIP_1) | instid1(VALU_DEP_4)
	v_fmac_f32_e32 v28, 0x3e9e377a, v7
	v_fmac_f32_e32 v6, 0x3e9e377a, v7
	v_dual_fmac_f32 v17, 0x3e9e377a, v19 :: v_dual_add_f32 v4, v4, v9
	v_fmac_f32_e32 v15, 0x3e9e377a, v19
	ds_store_2addr_b32 v16, v4, v17 offset1:2
	ds_store_2addr_b32 v16, v6, v28 offset0:4 offset1:6
	ds_store_b32 v16, v15 offset:32
.LBB0_25:
	s_wait_alu 0xfffe
	s_or_b32 exec_lo, exec_lo, s1
	v_dual_add_f32 v4, v44, v40 :: v_dual_sub_f32 v7, v14, v25
	v_dual_add_f32 v6, v2, v43 :: v_dual_sub_f32 v15, v43, v44
	v_dual_sub_f32 v14, v29, v27 :: v_dual_add_f32 v17, v43, v42
	s_delay_alu instid0(VALU_DEP_3)
	v_fma_f32 v4, -0.5, v4, v2
	v_sub_f32_e32 v16, v42, v40
	v_sub_f32_e32 v12, v12, v13
	global_wb scope:SCOPE_SE
	s_wait_dscnt 0x0
	v_fma_f32 v2, -0.5, v17, v2
	v_fmamk_f32 v19, v7, 0xbf737871, v4
	v_fmac_f32_e32 v4, 0x3f737871, v7
	v_add_f32_e32 v6, v6, v44
	v_dual_sub_f32 v18, v44, v43 :: v_dual_add_f32 v15, v15, v16
	v_dual_sub_f32 v16, v40, v42 :: v_dual_fmamk_f32 v17, v14, 0x3f737871, v2
	s_delay_alu instid0(VALU_DEP_4) | instskip(NEXT) | instid1(VALU_DEP_4)
	v_dual_fmac_f32 v4, 0x3f167918, v14 :: v_dual_add_f32 v25, v34, v35
	v_dual_fmac_f32 v19, 0xbf167918, v14 :: v_dual_add_f32 v6, v6, v40
	v_lshl_add_u32 v40, v45, 2, 0
	v_dual_sub_f32 v10, v10, v11 :: v_dual_sub_f32 v11, v33, v34
	v_add_f32_e32 v16, v18, v16
	v_fma_f32 v18, -0.5, v25, v3
	v_dual_fmac_f32 v19, 0x3e9e377a, v15 :: v_dual_add_f32 v6, v6, v42
	v_fmac_f32_e32 v17, 0xbf167918, v7
	v_fmac_f32_e32 v2, 0xbf737871, v14
	s_delay_alu instid0(VALU_DEP_4) | instskip(NEXT) | instid1(VALU_DEP_3)
	v_dual_fmamk_f32 v13, v12, 0xbf737871, v18 :: v_dual_add_f32 v14, v3, v33
	v_dual_fmac_f32 v4, 0x3e9e377a, v15 :: v_dual_fmac_f32 v17, 0x3e9e377a, v16
	v_sub_f32_e32 v15, v53, v35
	s_delay_alu instid0(VALU_DEP_3)
	v_dual_fmac_f32 v2, 0x3f167918, v7 :: v_dual_add_f32 v7, v14, v34
	v_add_nc_u32_e32 v41, 0x200, v40
	v_add_nc_u32_e32 v42, 0x600, v40
	;; [unrolled: 1-line block ×4, first 2 shown]
	v_dual_add_f32 v14, v33, v53 :: v_dual_add_f32 v7, v7, v35
	v_fmac_f32_e32 v13, 0xbf167918, v10
	v_dual_add_f32 v11, v11, v15 :: v_dual_fmac_f32 v18, 0x3f737871, v12
	v_dual_sub_f32 v15, v34, v33 :: v_dual_fmac_f32 v2, 0x3e9e377a, v16
	s_delay_alu instid0(VALU_DEP_4)
	v_add_f32_e32 v7, v7, v53
	v_sub_f32_e32 v16, v35, v53
	s_barrier_signal -1
	s_barrier_wait -1
	global_inv scope:SCOPE_SE
	ds_load_2addr_b32 v[25:26], v39 offset1:110
	ds_load_2addr_b32 v[35:36], v41 offset0:92 offset1:202
	ds_load_2addr_b32 v[33:34], v42 offset0:56 offset1:166
	;; [unrolled: 1-line block ×4, first 2 shown]
	ds_load_b32 v46, v39 offset:4400
	v_fmac_f32_e32 v3, -0.5, v14
	global_wb scope:SCOPE_SE
	s_wait_dscnt 0x0
	s_barrier_signal -1
	s_barrier_wait -1
	global_inv scope:SCOPE_SE
	v_fmamk_f32 v14, v10, 0x3f737871, v3
	v_fmac_f32_e32 v3, 0xbf737871, v10
	v_fmac_f32_e32 v18, 0x3f167918, v10
	v_add_f32_e32 v10, v15, v16
	s_delay_alu instid0(VALU_DEP_4) | instskip(NEXT) | instid1(VALU_DEP_4)
	v_fmac_f32_e32 v14, 0xbf167918, v12
	v_fmac_f32_e32 v3, 0x3f167918, v12
	;; [unrolled: 1-line block ×4, first 2 shown]
	s_delay_alu instid0(VALU_DEP_4) | instskip(NEXT) | instid1(VALU_DEP_4)
	v_fmac_f32_e32 v14, 0x3e9e377a, v10
	v_fmac_f32_e32 v3, 0x3e9e377a, v10
	ds_store_2addr_b32 v52, v6, v19 offset1:2
	ds_store_2addr_b32 v52, v17, v2 offset0:4 offset1:6
	ds_store_b32 v52, v4 offset:32
	ds_store_2addr_b32 v51, v7, v13 offset1:2
	ds_store_2addr_b32 v51, v14, v3 offset0:4 offset1:6
	ds_store_b32 v51, v18 offset:32
	s_and_saveexec_b32 s1, s0
	s_cbranch_execz .LBB0_27
; %bb.26:
	v_dual_add_f32 v2, v0, v47 :: v_dual_sub_f32 v1, v1, v8
	v_add_f32_e32 v3, v48, v49
	v_dual_sub_f32 v4, v5, v9 :: v_dual_add_f32 v5, v47, v50
	s_delay_alu instid0(VALU_DEP_3) | instskip(SKIP_1) | instid1(VALU_DEP_4)
	v_add_f32_e32 v2, v2, v48
	v_dual_sub_f32 v6, v47, v48 :: v_dual_sub_f32 v7, v50, v49
	v_fma_f32 v3, -0.5, v3, v0
	s_delay_alu instid0(VALU_DEP_4) | instskip(SKIP_2) | instid1(VALU_DEP_4)
	v_fmac_f32_e32 v0, -0.5, v5
	v_dual_sub_f32 v8, v48, v47 :: v_dual_sub_f32 v9, v49, v50
	v_mul_u32_u24_e32 v10, 10, v38
	v_dual_fmamk_f32 v5, v4, 0xbf737871, v3 :: v_dual_add_f32 v2, v2, v49
	s_delay_alu instid0(VALU_DEP_4) | instskip(SKIP_1) | instid1(VALU_DEP_3)
	v_dual_add_f32 v6, v6, v7 :: v_dual_fmamk_f32 v7, v1, 0x3f737871, v0
	v_fmac_f32_e32 v0, 0xbf737871, v1
	v_dual_fmac_f32 v5, 0xbf167918, v1 :: v_dual_add_f32 v2, v2, v50
	v_fmac_f32_e32 v3, 0x3f737871, v4
	s_delay_alu instid0(VALU_DEP_4) | instskip(SKIP_1) | instid1(VALU_DEP_3)
	v_dual_fmac_f32 v7, 0xbf167918, v4 :: v_dual_add_f32 v8, v8, v9
	v_or_b32_e32 v9, v10, v37
	v_dual_fmac_f32 v0, 0x3f167918, v4 :: v_dual_fmac_f32 v3, 0x3f167918, v1
	v_fmac_f32_e32 v5, 0x3e9e377a, v6
	s_delay_alu instid0(VALU_DEP_4) | instskip(NEXT) | instid1(VALU_DEP_4)
	v_fmac_f32_e32 v7, 0x3e9e377a, v8
	v_lshl_add_u32 v1, v9, 2, 0
	s_delay_alu instid0(VALU_DEP_4)
	v_dual_fmac_f32 v0, 0x3e9e377a, v8 :: v_dual_fmac_f32 v3, 0x3e9e377a, v6
	ds_store_2addr_b32 v1, v2, v5 offset1:2
	ds_store_2addr_b32 v1, v7, v0 offset0:4 offset1:6
	ds_store_b32 v1, v3 offset:32
.LBB0_27:
	s_wait_alu 0xfffe
	s_or_b32 exec_lo, exec_lo, s1
	v_and_b32_e32 v0, 0xff, v45
	global_wb scope:SCOPE_SE
	s_wait_dscnt 0x0
	s_barrier_signal -1
	s_barrier_wait -1
	global_inv scope:SCOPE_SE
	v_mul_lo_u16 v0, 0xcd, v0
	s_delay_alu instid0(VALU_DEP_1) | instskip(NEXT) | instid1(VALU_DEP_1)
	v_lshrrev_b16 v47, 11, v0
	v_mul_lo_u16 v0, v47, 10
	s_delay_alu instid0(VALU_DEP_1) | instskip(NEXT) | instid1(VALU_DEP_1)
	v_sub_nc_u16 v0, v45, v0
	v_and_b32_e32 v52, 0xff, v0
	s_delay_alu instid0(VALU_DEP_1) | instskip(NEXT) | instid1(VALU_DEP_1)
	v_mul_u32_u24_e32 v0, 10, v52
	v_lshlrev_b32_e32 v16, 3, v0
	s_clause 0x4
	global_load_b128 v[12:15], v16, s[8:9] offset:64
	global_load_b128 v[8:11], v16, s[8:9] offset:80
	global_load_b128 v[4:7], v16, s[8:9] offset:96
	global_load_b128 v[0:3], v16, s[8:9] offset:112
	global_load_b128 v[16:19], v16, s[8:9] offset:128
	ds_load_2addr_b32 v[27:28], v39 offset1:110
	ds_load_2addr_b32 v[37:38], v41 offset0:92 offset1:202
	ds_load_2addr_b32 v[48:49], v42 offset0:56 offset1:166
	;; [unrolled: 1-line block ×3, first 2 shown]
	v_lshlrev_b32_e32 v54, 2, v52
	ds_load_2addr_b32 v[52:53], v44 offset0:112 offset1:222
	ds_load_b32 v55, v39 offset:4400
	v_and_b32_e32 v47, 0xffff, v47
	global_wb scope:SCOPE_SE
	s_wait_loadcnt_dscnt 0x0
	s_barrier_signal -1
	s_barrier_wait -1
	global_inv scope:SCOPE_SE
	v_mul_u32_u24_e32 v47, 0x1b8, v47
	v_mul_f32_e32 v56, v37, v15
	v_mul_f32_e32 v15, v35, v15
	;; [unrolled: 1-line block ×4, first 2 shown]
	v_add3_u32 v47, 0, v47, v54
	v_mul_f32_e32 v54, v28, v13
	v_mul_f32_e32 v13, v26, v13
	v_dual_mul_f32 v60, v50, v7 :: v_dual_mul_f32 v61, v51, v1
	v_dual_mul_f32 v1, v32, v1 :: v_dual_mul_f32 v64, v55, v19
	;; [unrolled: 1-line block ×4, first 2 shown]
	v_mul_f32_e32 v63, v53, v17
	v_fma_f32 v26, v26, v12, -v54
	v_fmac_f32_e32 v1, v51, v0
	v_fmac_f32_e32 v15, v37, v14
	v_mul_f32_e32 v19, v46, v19
	v_fmac_f32_e32 v13, v28, v12
	v_mul_f32_e32 v11, v33, v11
	v_fma_f32 v28, v46, v18, -v64
	v_mul_f32_e32 v3, v29, v3
	v_mul_f32_e32 v7, v31, v7
	v_fma_f32 v12, v35, v14, -v56
	v_fma_f32 v14, v36, v8, -v57
	v_fmac_f32_e32 v9, v38, v8
	v_fma_f32 v8, v33, v10, -v58
	v_fmac_f32_e32 v3, v52, v2
	v_fmac_f32_e32 v19, v55, v18
	v_dual_add_f32 v18, v27, v13 :: v_dual_fmac_f32 v11, v48, v10
	v_fma_f32 v10, v34, v4, -v59
	v_fmac_f32_e32 v5, v49, v4
	v_fma_f32 v4, v31, v6, -v60
	v_mul_f32_e32 v17, v30, v17
	s_delay_alu instid0(VALU_DEP_2)
	v_add_f32_e32 v52, v10, v4
	v_fmac_f32_e32 v7, v50, v6
	v_fma_f32 v6, v32, v0, -v61
	v_fma_f32 v0, v29, v2, -v62
	;; [unrolled: 1-line block ×3, first 2 shown]
	v_dual_add_f32 v29, v26, v28 :: v_dual_add_f32 v30, v13, v19
	v_fmac_f32_e32 v17, v53, v16
	v_add_f32_e32 v16, v25, v26
	v_sub_f32_e32 v26, v26, v28
	v_dual_sub_f32 v37, v14, v0 :: v_dual_add_f32 v46, v8, v6
	v_add_f32_e32 v36, v9, v3
	v_sub_f32_e32 v38, v9, v3
	s_delay_alu instid0(VALU_DEP_4) | instskip(NEXT) | instid1(VALU_DEP_4)
	v_mul_f32_e32 v60, 0xbf4178ce, v26
	v_dual_sub_f32 v33, v12, v2 :: v_dual_mul_f32 v70, 0xbf7d64f0, v37
	v_dual_add_f32 v31, v12, v2 :: v_dual_add_f32 v50, v11, v1
	v_add_f32_e32 v54, v5, v7
	s_delay_alu instid0(VALU_DEP_3)
	v_mul_f32_e32 v62, 0xbf68dda4, v33
	v_sub_f32_e32 v48, v11, v1
	v_sub_f32_e32 v34, v15, v17
	v_dual_add_f32 v12, v16, v12 :: v_dual_sub_f32 v13, v13, v19
	v_dual_mul_f32 v56, 0xbf68dda4, v26 :: v_dual_add_f32 v35, v14, v0
	v_dual_mul_f32 v58, 0xbf7d64f0, v26 :: v_dual_sub_f32 v51, v5, v7
	s_delay_alu instid0(VALU_DEP_3)
	v_mul_f32_e32 v16, 0xbf0a6770, v13
	v_dual_add_f32 v32, v15, v17 :: v_dual_sub_f32 v53, v10, v4
	v_dual_mul_f32 v66, 0x3e903f40, v33 :: v_dual_add_f32 v15, v18, v15
	v_mul_f32_e32 v68, 0x3f7d64f0, v33
	v_mul_f32_e32 v18, 0xbf0a6770, v26
	v_dual_mul_f32 v55, 0xbf68dda4, v13 :: v_dual_add_f32 v12, v12, v14
	v_dual_mul_f32 v75, 0xbf0a6770, v38 :: v_dual_mul_f32 v76, 0xbf0a6770, v37
	v_fma_f32 v14, 0x3f575c64, v29, -v16
	v_mul_f32_e32 v57, 0xbf7d64f0, v13
	v_dual_sub_f32 v49, v8, v6 :: v_dual_mul_f32 v64, 0xbf4178ce, v33
	v_mul_f32_e32 v59, 0xbf4178ce, v13
	v_dual_mul_f32 v13, 0xbe903f40, v13 :: v_dual_mul_f32 v80, 0xbe903f40, v48
	v_mul_f32_e32 v26, 0xbe903f40, v26
	v_dual_mul_f32 v65, 0x3e903f40, v34 :: v_dual_mul_f32 v72, 0x3e903f40, v37
	v_dual_mul_f32 v67, 0x3f7d64f0, v34 :: v_dual_mul_f32 v78, 0x3f7d64f0, v48
	;; [unrolled: 1-line block ×3, first 2 shown]
	v_add_f32_e32 v9, v15, v9
	v_fmamk_f32 v15, v30, 0x3f575c64, v18
	v_fmac_f32_e32 v16, 0x3f575c64, v29
	v_fma_f32 v93, 0x3ed4b147, v29, -v55
	v_mul_f32_e32 v63, 0xbf4178ce, v34
	v_fma_f32 v113, 0x3f575c64, v35, -v75
	v_fmac_f32_e32 v75, 0x3f575c64, v35
	v_dual_mul_f32 v61, 0xbf68dda4, v34 :: v_dual_add_f32 v16, v25, v16
	v_mul_f32_e32 v34, 0x3f0a6770, v34
	v_add_f32_e32 v14, v25, v14
	v_fma_f32 v95, 0xbe11bafb, v29, -v57
	v_mul_f32_e32 v90, 0x3f0a6770, v53
	v_dual_fmamk_f32 v96, v30, 0xbe11bafb, v58 :: v_dual_fmac_f32 v57, 0xbe11bafb, v29
	v_mul_f32_e32 v88, 0x3f68dda4, v51
	v_mul_f32_e32 v71, 0x3e903f40, v38
	v_dual_mul_f32 v73, 0x3f68dda4, v38 :: v_dual_mul_f32 v74, 0x3f68dda4, v37
	v_dual_mul_f32 v81, 0xbf4178ce, v49 :: v_dual_add_f32 v8, v12, v8
	v_dual_mul_f32 v84, 0xbe903f40, v49 :: v_dual_mul_f32 v85, 0xbe903f40, v51
	v_fma_f32 v18, 0x3f575c64, v30, -v18
	v_mul_f32_e32 v37, 0xbf4178ce, v37
	v_dual_fmamk_f32 v94, v30, 0x3ed4b147, v56 :: v_dual_fmac_f32 v55, 0x3ed4b147, v29
	v_mul_f32_e32 v82, 0x3f7d64f0, v49
	v_fma_f32 v56, 0x3ed4b147, v30, -v56
	v_mul_f32_e32 v69, 0xbf7d64f0, v38
	v_mul_f32_e32 v38, 0xbf4178ce, v38
	v_fma_f32 v58, 0xbe11bafb, v30, -v58
	v_mul_f32_e32 v77, 0xbf4178ce, v48
	v_fma_f32 v97, 0xbf27a4f4, v29, -v59
	v_dual_fmamk_f32 v98, v30, 0xbf27a4f4, v60 :: v_dual_fmac_f32 v59, 0xbf27a4f4, v29
	v_mul_f32_e32 v79, 0xbf0a6770, v48
	v_mul_f32_e32 v48, 0x3f68dda4, v48
	;; [unrolled: 1-line block ×3, first 2 shown]
	v_fma_f32 v60, 0xbf27a4f4, v30, -v60
	v_add_f32_e32 v59, v25, v59
	v_fma_f32 v99, 0xbf75a155, v29, -v13
	v_dual_fmamk_f32 v100, v30, 0xbf75a155, v26 :: v_dual_fmac_f32 v13, 0xbf75a155, v29
	v_mul_f32_e32 v83, 0xbf0a6770, v49
	v_mul_f32_e32 v49, 0x3f68dda4, v49
	v_fma_f32 v26, 0xbf75a155, v30, -v26
	s_delay_alu instid0(VALU_DEP_4)
	v_dual_add_f32 v12, v27, v100 :: v_dual_mul_f32 v87, 0xbf4178ce, v51
	v_dual_mul_f32 v51, 0xbf7d64f0, v51 :: v_dual_add_f32 v8, v8, v10
	v_fma_f32 v29, 0x3ed4b147, v31, -v61
	v_dual_fmamk_f32 v30, v32, 0x3ed4b147, v62 :: v_dual_fmac_f32 v61, 0x3ed4b147, v31
	v_mul_f32_e32 v91, 0xbf4178ce, v53
	v_fma_f32 v101, 0xbf27a4f4, v31, -v63
	v_fmamk_f32 v108, v32, 0x3f575c64, v33
	v_dual_fmamk_f32 v128, v54, 0x3f575c64, v90 :: v_dual_add_f32 v9, v9, v11
	v_add_f32_e32 v57, v25, v57
	v_fma_f32 v126, 0x3ed4b147, v52, -v88
	v_dual_fmac_f32 v88, 0x3ed4b147, v52 :: v_dual_add_f32 v15, v27, v15
	v_mul_f32_e32 v89, 0xbe903f40, v53
	v_mul_f32_e32 v53, 0xbf7d64f0, v53
	v_fma_f32 v62, 0x3ed4b147, v32, -v62
	v_dual_fmamk_f32 v102, v32, 0xbf27a4f4, v64 :: v_dual_fmac_f32 v63, 0xbf27a4f4, v31
	v_fma_f32 v64, 0xbf27a4f4, v32, -v64
	v_fma_f32 v103, 0xbf75a155, v31, -v65
	v_dual_fmamk_f32 v104, v32, 0xbf75a155, v66 :: v_dual_fmac_f32 v65, 0xbf75a155, v31
	v_fma_f32 v66, 0xbf75a155, v32, -v66
	;; [unrolled: 3-line block ×3, first 2 shown]
	v_fma_f32 v107, 0x3f575c64, v31, -v34
	v_fmac_f32_e32 v34, 0x3f575c64, v31
	v_fma_f32 v31, 0x3f575c64, v32, -v33
	v_fmamk_f32 v33, v36, 0xbe11bafb, v70
	v_fma_f32 v70, 0xbe11bafb, v36, -v70
	v_fma_f32 v109, 0xbf75a155, v35, -v71
	v_dual_fmamk_f32 v110, v36, 0xbf75a155, v72 :: v_dual_fmac_f32 v71, 0xbf75a155, v35
	v_fma_f32 v72, 0xbf75a155, v36, -v72
	v_fma_f32 v111, 0x3ed4b147, v35, -v73
	v_dual_fmamk_f32 v112, v36, 0x3ed4b147, v74 :: v_dual_fmac_f32 v73, 0x3ed4b147, v35
	v_fma_f32 v74, 0x3ed4b147, v36, -v74
	v_dual_fmamk_f32 v114, v36, 0x3f575c64, v76 :: v_dual_fmamk_f32 v121, v50, 0x3f575c64, v83
	v_fma_f32 v76, 0x3f575c64, v36, -v76
	v_fma_f32 v115, 0xbf27a4f4, v35, -v38
	v_fma_f32 v116, 0xbe11bafb, v46, -v78
	v_fmac_f32_e32 v78, 0xbe11bafb, v46
	v_fma_f32 v117, 0x3f575c64, v46, -v79
	v_fmac_f32_e32 v79, 0x3f575c64, v46
	v_fma_f32 v118, 0xbf75a155, v46, -v80
	;; [unrolled: 2-line block ×3, first 2 shown]
	v_dual_fmac_f32 v48, 0x3ed4b147, v46 :: v_dual_fmamk_f32 v123, v50, 0x3ed4b147, v49
	v_fma_f32 v83, 0x3f575c64, v50, -v83
	v_fmamk_f32 v122, v50, 0xbf75a155, v84
	v_fma_f32 v84, 0xbf75a155, v50, -v84
	v_fma_f32 v49, 0x3ed4b147, v50, -v49
	;; [unrolled: 1-line block ×3, first 2 shown]
	v_dual_fmac_f32 v86, 0x3f575c64, v52 :: v_dual_add_f32 v13, v25, v13
	v_fma_f32 v127, 0xbe11bafb, v52, -v51
	v_fmac_f32_e32 v51, 0xbe11bafb, v52
	v_fma_f32 v90, 0x3f575c64, v54, -v90
	v_dual_fmamk_f32 v130, v54, 0x3ed4b147, v92 :: v_dual_add_f32 v11, v27, v60
	v_fma_f32 v92, 0x3ed4b147, v54, -v92
	v_fmamk_f32 v131, v54, 0xbe11bafb, v53
	v_fma_f32 v53, 0xbe11bafb, v54, -v53
	v_dual_add_f32 v55, v25, v55 :: v_dual_fmamk_f32 v120, v50, 0xbe11bafb, v82
	v_fma_f32 v82, 0xbe11bafb, v50, -v82
	v_add_f32_e32 v18, v27, v18
	v_fmac_f32_e32 v38, 0xbf27a4f4, v35
	v_add_f32_e32 v56, v27, v56
	v_fma_f32 v32, 0xbe11bafb, v35, -v69
	v_fmac_f32_e32 v69, 0xbe11bafb, v35
	v_fmamk_f32 v35, v36, 0xbf27a4f4, v37
	v_fma_f32 v36, 0xbf27a4f4, v36, -v37
	v_add_f32_e32 v58, v27, v58
	v_fma_f32 v37, 0xbf27a4f4, v46, -v77
	v_fmac_f32_e32 v77, 0xbf27a4f4, v46
	v_fmamk_f32 v46, v50, 0xbf27a4f4, v81
	v_fma_f32 v81, 0xbf27a4f4, v50, -v81
	v_fma_f32 v50, 0xbf75a155, v52, -v85
	v_dual_fmac_f32 v85, 0xbf75a155, v52 :: v_dual_add_f32 v26, v27, v26
	v_fma_f32 v125, 0xbf27a4f4, v52, -v87
	v_fmac_f32_e32 v87, 0xbf27a4f4, v52
	v_dual_add_f32 v5, v9, v5 :: v_dual_add_f32 v12, v108, v12
	v_dual_add_f32 v9, v29, v14 :: v_dual_add_f32 v4, v8, v4
	v_add_f32_e32 v10, v30, v15
	v_fmamk_f32 v52, v54, 0xbf75a155, v89
	v_fma_f32 v89, 0xbf75a155, v54, -v89
	v_dual_add_f32 v14, v61, v16 :: v_dual_fmamk_f32 v129, v54, 0xbf27a4f4, v91
	v_fma_f32 v91, 0xbf27a4f4, v54, -v91
	v_add_f32_e32 v54, v25, v93
	v_add_f32_e32 v93, v25, v95
	;; [unrolled: 1-line block ×9, first 2 shown]
	v_dual_add_f32 v18, v102, v25 :: v_dual_add_f32 v25, v63, v55
	v_dual_add_f32 v8, v33, v10 :: v_dual_add_f32 v27, v64, v56
	v_add_f32_e32 v26, v31, v26
	v_add_f32_e32 v30, v104, v94
	;; [unrolled: 1-line block ×3, first 2 shown]
	v_dual_add_f32 v5, v5, v7 :: v_dual_add_f32 v12, v35, v12
	v_add_f32_e32 v7, v32, v9
	v_add_f32_e32 v9, v69, v14
	v_dual_add_f32 v14, v109, v16 :: v_dual_add_f32 v29, v103, v93
	v_add_f32_e32 v10, v70, v15
	v_add_f32_e32 v56, v105, v95
	;; [unrolled: 3-line block ×3, first 2 shown]
	v_add_f32_e32 v59, v107, v97
	v_dual_add_f32 v25, v111, v29 :: v_dual_add_f32 v26, v36, v26
	v_dual_add_f32 v15, v110, v18 :: v_dual_add_f32 v18, v72, v27
	;; [unrolled: 1-line block ×6, first 2 shown]
	v_add_f32_e32 v29, v73, v54
	v_add_f32_e32 v11, v76, v11
	v_dual_add_f32 v1, v5, v1 :: v_dual_add_f32 v6, v46, v8
	s_delay_alu instid0(VALU_DEP_4)
	v_add_f32_e32 v0, v4, v0
	v_dual_add_f32 v8, v81, v10 :: v_dual_add_f32 v13, v38, v13
	v_add_f32_e32 v5, v37, v7
	v_dual_add_f32 v10, v120, v15 :: v_dual_add_f32 v7, v77, v9
	v_dual_add_f32 v9, v116, v14 :: v_dual_add_f32 v14, v78, v16
	v_add_f32_e32 v33, v75, v58
	v_dual_add_f32 v15, v82, v18 :: v_dual_add_f32 v16, v117, v25
	v_dual_add_f32 v18, v121, v27 :: v_dual_add_f32 v27, v83, v30
	;; [unrolled: 1-line block ×3, first 2 shown]
	v_add_f32_e32 v29, v118, v31
	v_add_f32_e32 v31, v80, v33
	v_dual_add_f32 v32, v84, v11 :: v_dual_add_f32 v33, v123, v12
	v_add_f32_e32 v0, v0, v2
	v_dual_add_f32 v12, v48, v13 :: v_dual_add_f32 v1, v1, v3
	v_add_f32_e32 v13, v49, v26
	v_add_f32_e32 v26, v52, v6
	s_delay_alu instid0(VALU_DEP_4) | instskip(NEXT) | instid1(VALU_DEP_4)
	v_add_f32_e32 v0, v0, v28
	v_add_f32_e32 v2, v51, v12
	v_dual_add_f32 v11, v119, v34 :: v_dual_add_f32 v4, v85, v7
	v_add_f32_e32 v35, v128, v10
	v_dual_add_f32 v7, v125, v16 :: v_dual_add_f32 v10, v88, v31
	v_dual_add_f32 v16, v130, v30 :: v_dual_add_f32 v1, v1, v17
	v_add_f32_e32 v3, v50, v5
	v_dual_add_f32 v5, v124, v9 :: v_dual_add_f32 v34, v89, v8
	v_add_f32_e32 v6, v86, v14
	v_add_f32_e32 v8, v87, v25
	;; [unrolled: 1-line block ×4, first 2 shown]
	ds_store_2addr_b32 v47, v5, v7 offset0:20 offset1:30
	ds_store_2addr_b32 v47, v9, v11 offset0:40 offset1:50
	;; [unrolled: 1-line block ×4, first 2 shown]
	ds_store_b32 v47, v4 offset:400
	v_add_f32_e32 v2, v1, v19
	ds_store_2addr_b32 v47, v0, v3 offset1:10
	global_wb scope:SCOPE_SE
	s_wait_dscnt 0x0
	s_barrier_signal -1
	s_barrier_wait -1
	global_inv scope:SCOPE_SE
	ds_load_2addr_b32 v[0:1], v39 offset1:110
	ds_load_2addr_b32 v[8:9], v41 offset0:92 offset1:202
	ds_load_2addr_b32 v[6:7], v42 offset0:56 offset1:166
	;; [unrolled: 1-line block ×4, first 2 shown]
	ds_load_b32 v12, v39 offset:4400
	v_dual_add_f32 v14, v90, v15 :: v_dual_add_f32 v15, v129, v18
	v_dual_add_f32 v18, v131, v33 :: v_dual_add_f32 v17, v92, v32
	v_add_f32_e32 v13, v53, v13
	v_add_f32_e32 v3, v91, v27
	global_wb scope:SCOPE_SE
	s_wait_dscnt 0x0
	s_barrier_signal -1
	s_barrier_wait -1
	global_inv scope:SCOPE_SE
	ds_store_2addr_b32 v47, v2, v26 offset1:10
	ds_store_2addr_b32 v47, v35, v15 offset0:20 offset1:30
	ds_store_2addr_b32 v47, v16, v18 offset0:40 offset1:50
	;; [unrolled: 1-line block ×4, first 2 shown]
	ds_store_b32 v47, v34 offset:400
	global_wb scope:SCOPE_SE
	s_wait_dscnt 0x0
	s_barrier_signal -1
	s_barrier_wait -1
	global_inv scope:SCOPE_SE
	s_and_saveexec_b32 s0, vcc_lo
	s_cbranch_execz .LBB0_29
; %bb.28:
	v_mul_u32_u24_e32 v2, 10, v45
	v_mul_lo_u32 v19, s3, v23
	v_mad_co_u64_u32 v[17:18], null, s2, v23, 0
	v_mul_lo_u32 v24, s2, v24
	s_delay_alu instid0(VALU_DEP_4)
	v_dual_mov_b32 v23, 0 :: v_dual_lshlrev_b32 v2, 3, v2
	s_clause 0x4
	global_load_b128 v[13:16], v2, s[8:9] offset:928
	global_load_b128 v[25:28], v2, s[8:9] offset:864
	;; [unrolled: 1-line block ×5, first 2 shown]
	ds_load_b32 v47, v39 offset:4400
	ds_load_2addr_b32 v[2:3], v39 offset1:110
	v_add3_u32 v18, v18, v24, v19
	v_add_nc_u32_e32 v37, 0xc00, v39
	v_add_nc_u32_e32 v24, 0x200, v40
	;; [unrolled: 1-line block ×3, first 2 shown]
	v_lshlrev_b64_e32 v[19:20], 3, v[20:21]
	v_lshlrev_b64_e32 v[17:18], 3, v[17:18]
	v_add_nc_u32_e32 v48, 0xa00, v39
	ds_load_2addr_b32 v[37:38], v37 offset0:112 offset1:222
	ds_load_2addr_b32 v[39:40], v24 offset0:92 offset1:202
	;; [unrolled: 1-line block ×3, first 2 shown]
	v_add_co_u32 v21, vcc_lo, s6, v17
	s_wait_alu 0xfffd
	v_add_co_ci_u32_e32 v24, vcc_lo, s7, v18, vcc_lo
	v_lshlrev_b64_e32 v[17:18], 3, v[22:23]
	s_delay_alu instid0(VALU_DEP_3) | instskip(SKIP_1) | instid1(VALU_DEP_3)
	v_add_co_u32 v21, vcc_lo, v21, v19
	s_wait_alu 0xfffd
	v_add_co_ci_u32_e32 v22, vcc_lo, v24, v20, vcc_lo
	s_delay_alu instid0(VALU_DEP_2) | instskip(SKIP_1) | instid1(VALU_DEP_2)
	v_add_co_u32 v17, vcc_lo, v21, v17
	s_wait_alu 0xfffd
	v_add_co_ci_u32_e32 v18, vcc_lo, v22, v18, vcc_lo
	s_wait_loadcnt 0x4
	v_mul_f32_e32 v23, v12, v16
	ds_load_2addr_b32 v[19:20], v48 offset0:20 offset1:130
	s_wait_loadcnt 0x3
	v_mul_f32_e32 v21, v1, v26
	s_wait_dscnt 0x4
	v_mul_f32_e32 v22, v3, v26
	s_wait_loadcnt 0x1
	v_dual_mul_f32 v16, v47, v16 :: v_dual_mul_f32 v49, v9, v34
	v_mul_f32_e32 v24, v11, v14
	s_wait_loadcnt 0x0
	v_dual_mul_f32 v26, v8, v28 :: v_dual_mul_f32 v53, v7, v42
	s_wait_dscnt 0x2
	v_dual_mul_f32 v28, v39, v28 :: v_dual_fmac_f32 v49, v40, v33
	v_dual_mul_f32 v14, v38, v14 :: v_dual_fmac_f32 v23, v47, v15
	;; [unrolled: 1-line block ×3, first 2 shown]
	v_dual_mul_f32 v34, v40, v34 :: v_dual_mul_f32 v51, v6, v36
	v_mul_f32_e32 v50, v5, v30
	s_wait_dscnt 0x1
	v_dual_mul_f32 v32, v37, v32 :: v_dual_fmac_f32 v53, v46, v41
	v_fma_f32 v3, v8, v27, -v28
	s_wait_dscnt 0x0
	v_dual_mul_f32 v30, v20, v30 :: v_dual_fmac_f32 v51, v45, v35
	v_fma_f32 v8, v9, v33, -v34
	v_add_f32_e32 v9, v23, v21
	v_fmac_f32_e32 v50, v20, v29
	s_delay_alu instid0(VALU_DEP_4)
	v_fma_f32 v5, v5, v29, -v30
	v_dual_sub_f32 v29, v21, v23 :: v_dual_mul_f32 v52, v4, v44
	v_fma_f32 v1, v1, v25, -v22
	v_fma_f32 v22, v11, v13, -v14
	;; [unrolled: 1-line block ×3, first 2 shown]
	v_mul_f32_e32 v44, v19, v44
	v_fmac_f32_e32 v52, v19, v43
	v_fma_f32 v16, v12, v15, -v16
	s_delay_alu instid0(VALU_DEP_4) | instskip(NEXT) | instid1(VALU_DEP_4)
	v_dual_fmac_f32 v26, v39, v27 :: v_dual_sub_f32 v15, v8, v14
	v_fma_f32 v4, v4, v43, -v44
	s_delay_alu instid0(VALU_DEP_4)
	v_add_f32_e32 v25, v52, v53
	v_fmac_f32_e32 v24, v38, v13
	v_fmac_f32_e32 v48, v37, v31
	v_mul_f32_e32 v42, v46, v42
	v_dual_sub_f32 v10, v1, v16 :: v_dual_add_f32 v19, v50, v51
	v_add_f32_e32 v28, v16, v1
	s_delay_alu instid0(VALU_DEP_4) | instskip(NEXT) | instid1(VALU_DEP_4)
	v_add_f32_e32 v13, v48, v49
	v_fma_f32 v7, v7, v41, -v42
	v_dual_add_f32 v30, v22, v3 :: v_dual_add_f32 v1, v0, v1
	v_mul_f32_e32 v54, 0xbe11bafb, v9
	v_dual_add_f32 v32, v14, v8 :: v_dual_mul_f32 v43, 0xbf0a6770, v29
	s_delay_alu instid0(VALU_DEP_4) | instskip(SKIP_4) | instid1(VALU_DEP_4)
	v_sub_f32_e32 v27, v7, v4
	v_dual_mul_f32 v36, v45, v36 :: v_dual_add_f32 v11, v24, v26
	v_sub_f32_e32 v31, v26, v24
	v_dual_sub_f32 v33, v49, v48 :: v_dual_sub_f32 v12, v3, v22
	v_sub_f32_e32 v37, v53, v52
	v_fma_f32 v6, v6, v35, -v36
	v_sub_f32_e32 v35, v51, v50
	v_add_f32_e32 v21, v2, v21
	v_dual_mul_f32 v42, 0xbf75a155, v25 :: v_dual_mul_f32 v55, 0xbf75a155, v11
	s_delay_alu instid0(VALU_DEP_4)
	v_dual_add_f32 v34, v5, v6 :: v_dual_mul_f32 v69, 0xbe903f40, v29
	v_dual_mul_f32 v71, 0xbf4178ce, v33 :: v_dual_mul_f32 v74, 0xbf4178ce, v10
	v_dual_mul_f32 v75, 0x3f7d64f0, v12 :: v_dual_mul_f32 v80, 0x3f7d64f0, v31
	v_dual_add_f32 v1, v1, v3 :: v_dual_sub_f32 v20, v6, v5
	v_mul_f32_e32 v39, 0x3ed4b147, v11
	v_dual_add_f32 v36, v4, v7 :: v_dual_mul_f32 v45, 0xbf7d64f0, v33
	v_dual_mul_f32 v38, 0x3f575c64, v9 :: v_dual_mul_f32 v57, 0x3f575c64, v19
	v_dual_mul_f32 v40, 0xbe11bafb, v13 :: v_dual_add_f32 v21, v21, v26
	v_mul_f32_e32 v41, 0xbf27a4f4, v19
	v_mul_f32_e32 v44, 0xbf68dda4, v31
	v_dual_mul_f32 v46, 0xbf4178ce, v35 :: v_dual_mul_f32 v63, 0xbf4178ce, v37
	v_mul_f32_e32 v60, 0x3e903f40, v31
	v_dual_mul_f32 v61, 0x3f68dda4, v33 :: v_dual_mul_f32 v72, 0x3f68dda4, v35
	v_dual_mul_f32 v62, 0xbf0a6770, v35 :: v_dual_mul_f32 v81, 0xbf0a6770, v33
	v_dual_mul_f32 v66, 0xbf27a4f4, v13 :: v_dual_fmamk_f32 v117, v9, 0xbf27a4f4, v74
	v_dual_mul_f32 v68, 0xbe11bafb, v25 :: v_dual_add_f32 v1, v1, v8
	v_mul_f32_e32 v59, 0xbf7d64f0, v29
	v_dual_mul_f32 v78, 0x3f68dda4, v27 :: v_dual_mul_f32 v83, 0x3f68dda4, v37
	v_mul_f32_e32 v79, 0xbf4178ce, v29
	v_mul_f32_e32 v33, 0x3e903f40, v33
	v_dual_mul_f32 v64, 0xbf75a155, v9 :: v_dual_fmamk_f32 v103, v30, 0xbf75a155, v60
	v_fmamk_f32 v98, v12, 0xbe903f40, v55
	v_fma_f32 v123, 0xbe11bafb, v30, -v80
	v_fmamk_f32 v112, v28, 0xbf75a155, v69
	v_fma_f32 v69, 0xbf75a155, v28, -v69
	v_fma_f32 v8, 0xbf27a4f4, v9, -v74
	v_dual_mul_f32 v47, 0xbe903f40, v37 :: v_dual_mul_f32 v82, 0xbe903f40, v35
	v_dual_mul_f32 v56, 0x3ed4b147, v13 :: v_dual_mul_f32 v67, 0x3ed4b147, v19
	v_dual_mul_f32 v58, 0xbf27a4f4, v25 :: v_dual_fmamk_f32 v95, v34, 0xbf27a4f4, v46
	v_dual_mul_f32 v65, 0x3f575c64, v11 :: v_dual_fmamk_f32 v92, v28, 0x3f575c64, v43
	v_mul_f32_e32 v70, 0x3f0a6770, v31
	v_mul_f32_e32 v73, 0xbf7d64f0, v37
	;; [unrolled: 1-line block ×3, first 2 shown]
	v_dual_mul_f32 v84, 0xbf68dda4, v10 :: v_dual_fmamk_f32 v99, v15, 0xbf68dda4, v56
	v_mul_f32_e32 v85, 0xbf4178ce, v12
	v_dual_mul_f32 v88, 0x3f0a6770, v27 :: v_dual_fmamk_f32 v3, v10, 0x3f0a6770, v38
	v_mul_f32_e32 v29, 0xbf68dda4, v29
	v_mul_f32_e32 v31, 0xbf4178ce, v31
	v_mul_f32_e32 v37, 0x3f0a6770, v37
	v_dual_fmamk_f32 v26, v12, 0x3f68dda4, v39 :: v_dual_add_f32 v21, v21, v49
	v_dual_fmamk_f32 v93, v30, 0x3ed4b147, v44 :: v_dual_fmamk_f32 v104, v32, 0x3ed4b147, v61
	v_fmamk_f32 v97, v10, 0x3f7d64f0, v54
	v_dual_fmamk_f32 v106, v36, 0xbf27a4f4, v63 :: v_dual_add_f32 v1, v1, v6
	v_fmamk_f32 v109, v15, 0x3f4178ce, v66
	v_fmac_f32_e32 v66, 0xbf4178ce, v15
	v_dual_fmamk_f32 v118, v11, 0xbe11bafb, v75 :: v_dual_add_f32 v49, v0, v69
	v_dual_fmamk_f32 v121, v25, 0x3ed4b147, v78 :: v_dual_add_f32 v6, v2, v8
	v_fma_f32 v122, 0xbf27a4f4, v28, -v79
	v_fmac_f32_e32 v54, 0xbf7d64f0, v10
	v_fmamk_f32 v111, v27, 0x3f7d64f0, v68
	v_fmac_f32_e32 v68, 0xbf7d64f0, v27
	v_dual_fmamk_f32 v102, v28, 0xbe11bafb, v59 :: v_dual_add_f32 v21, v21, v51
	v_fma_f32 v59, 0xbe11bafb, v28, -v59
	v_fmac_f32_e32 v38, 0xbf0a6770, v10
	v_fmac_f32_e32 v79, 0xbf27a4f4, v28
	v_fmamk_f32 v107, v10, 0x3e903f40, v64
	v_fmac_f32_e32 v64, 0xbe903f40, v10
	v_fma_f32 v10, 0x3f575c64, v28, -v43
	v_fma_f32 v43, 0xbe11bafb, v11, -v75
	v_add_f32_e32 v8, v0, v79
	v_mul_f32_e32 v76, 0xbf0a6770, v15
	v_dual_mul_f32 v86, 0x3e903f40, v15 :: v_dual_fmamk_f32 v91, v27, 0x3e903f40, v42
	v_mul_f32_e32 v35, 0x3f7d64f0, v35
	v_dual_fmamk_f32 v90, v20, 0x3f4178ce, v41 :: v_dual_fmamk_f32 v101, v27, 0x3f4178ce, v58
	v_dual_fmamk_f32 v94, v32, 0xbe11bafb, v45 :: v_dual_add_f32 v3, v2, v3
	s_delay_alu instid0(VALU_DEP_4) | instskip(SKIP_1) | instid1(VALU_DEP_3)
	v_dual_fmamk_f32 v96, v36, 0xbf75a155, v47 :: v_dual_fmamk_f32 v129, v13, 0xbf75a155, v86
	v_fmamk_f32 v100, v20, 0x3f0a6770, v57
	v_dual_fmamk_f32 v108, v12, 0xbf0a6770, v65 :: v_dual_add_f32 v3, v3, v26
	v_fma_f32 v126, 0x3ed4b147, v36, -v83
	v_fmac_f32_e32 v58, 0xbf4178ce, v27
	v_fma_f32 v60, 0xbf75a155, v30, -v60
	v_fma_f32 v63, 0xbf27a4f4, v36, -v63
	v_fmamk_f32 v127, v9, 0x3ed4b147, v84
	v_fmac_f32_e32 v65, 0x3f0a6770, v12
	v_dual_fmamk_f32 v128, v11, 0xbf27a4f4, v85 :: v_dual_add_f32 v59, v0, v59
	v_fmamk_f32 v116, v36, 0xbe11bafb, v73
	v_fma_f32 v73, 0xbe11bafb, v36, -v73
	v_fma_f32 v132, 0x3ed4b147, v28, -v29
	;; [unrolled: 1-line block ×3, first 2 shown]
	v_dual_add_f32 v51, v59, v60 :: v_dual_fmac_f32 v80, 0xbe11bafb, v30
	v_add_f32_e32 v1, v1, v7
	v_fmac_f32_e32 v42, 0xbe903f40, v27
	v_fma_f32 v27, 0xbf75a155, v36, -v47
	v_fmac_f32_e32 v83, 0x3ed4b147, v36
	v_fma_f32 v9, 0x3ed4b147, v9, -v84
	;; [unrolled: 2-line block ×3, first 2 shown]
	v_dual_fmac_f32 v29, 0x3ed4b147, v28 :: v_dual_add_f32 v6, v6, v43
	v_fmamk_f32 v113, v30, 0x3f575c64, v70
	v_fma_f32 v70, 0x3f575c64, v30, -v70
	v_fmac_f32_e32 v37, 0x3f575c64, v36
	v_add_f32_e32 v28, v0, v92
	v_fma_f32 v133, 0xbf27a4f4, v30, -v31
	v_dual_fmac_f32 v31, 0xbf27a4f4, v30 :: v_dual_add_f32 v36, v0, v112
	v_mul_f32_e32 v87, 0x3f7d64f0, v20
	v_add_f32_e32 v47, v2, v64
	v_fmac_f32_e32 v39, 0xbf68dda4, v12
	v_fma_f32 v12, 0x3ed4b147, v30, -v44
	v_dual_add_f32 v30, v2, v97 :: v_dual_fmamk_f32 v89, v15, 0x3f7d64f0, v40
	v_dual_fmamk_f32 v105, v34, 0x3f575c64, v62 :: v_dual_add_f32 v10, v0, v10
	v_fmamk_f32 v110, v20, 0xbf68dda4, v67
	v_dual_fmac_f32 v67, 0x3f68dda4, v20 :: v_dual_fmac_f32 v56, 0x3f68dda4, v15
	v_dual_fmamk_f32 v120, v19, 0xbf75a155, v77 :: v_dual_add_f32 v69, v0, v122
	v_fma_f32 v124, 0x3f575c64, v32, -v81
	v_fma_f32 v125, 0xbf75a155, v34, -v82
	v_fmac_f32_e32 v57, 0xbf0a6770, v20
	v_dual_fmamk_f32 v119, v13, 0x3f575c64, v76 :: v_dual_add_f32 v38, v2, v38
	v_fma_f32 v61, 0x3ed4b147, v32, -v61
	v_fma_f32 v62, 0x3f575c64, v34, -v62
	v_dual_fmamk_f32 v130, v19, 0xbe11bafb, v87 :: v_dual_add_f32 v75, v0, v132
	v_fma_f32 v134, 0xbf75a155, v32, -v33
	v_fmac_f32_e32 v40, 0xbf7d64f0, v15
	v_fmac_f32_e32 v41, 0xbf4178ce, v20
	v_fma_f32 v15, 0xbe11bafb, v32, -v45
	v_fma_f32 v20, 0xbf27a4f4, v34, -v46
	v_fmac_f32_e32 v81, 0x3f575c64, v32
	v_dual_fmac_f32 v82, 0xbf75a155, v34 :: v_dual_fmac_f32 v33, 0xbf75a155, v32
	v_add_f32_e32 v64, v2, v117
	v_add_f32_e32 v54, v2, v54
	v_fmamk_f32 v114, v32, 0xbf27a4f4, v71
	v_fma_f32 v71, 0xbf27a4f4, v32, -v71
	v_dual_add_f32 v32, v0, v102 :: v_dual_fmamk_f32 v115, v34, 0x3ed4b147, v72
	v_fma_f32 v72, 0x3ed4b147, v34, -v72
	v_fma_f32 v135, 0xbe11bafb, v34, -v35
	v_dual_fmac_f32 v35, 0xbe11bafb, v34 :: v_dual_add_f32 v10, v10, v12
	v_add_f32_e32 v34, v2, v107
	v_add_f32_e32 v26, v30, v98
	;; [unrolled: 1-line block ×4, first 2 shown]
	v_dual_add_f32 v0, v0, v29 :: v_dual_fmamk_f32 v131, v25, 0x3f575c64, v88
	v_add_f32_e32 v30, v36, v113
	v_add_f32_e32 v9, v28, v93
	v_dual_add_f32 v28, v32, v103 :: v_dual_add_f32 v29, v34, v108
	v_add_f32_e32 v32, v47, v65
	v_add_f32_e32 v34, v49, v70
	v_dual_add_f32 v36, v64, v118 :: v_dual_add_f32 v47, v69, v123
	v_add_f32_e32 v49, v54, v55
	v_add_f32_e32 v54, v74, v128
	;; [unrolled: 1-line block ×4, first 2 shown]
	v_fma_f32 v44, 0x3f575c64, v13, -v76
	v_fma_f32 v13, 0xbf75a155, v13, -v86
	v_add_f32_e32 v55, v75, v133
	v_dual_add_f32 v7, v8, v80 :: v_dual_add_f32 v2, v2, v11
	v_dual_add_f32 v0, v0, v31 :: v_dual_add_f32 v3, v3, v89
	;; [unrolled: 1-line block ×7, first 2 shown]
	v_add_f32_e32 v34, v51, v61
	v_dual_add_f32 v36, v54, v129 :: v_dual_add_f32 v39, v55, v134
	v_dual_add_f32 v38, v38, v40 :: v_dual_add_f32 v1, v4, v1
	v_add_f32_e32 v12, v52, v12
	v_fma_f32 v45, 0xbf75a155, v19, -v77
	v_fma_f32 v19, 0xbe11bafb, v19, -v87
	v_dual_add_f32 v10, v10, v15 :: v_dual_add_f32 v3, v3, v90
	v_add_f32_e32 v4, v6, v44
	v_add_f32_e32 v6, v7, v81
	v_dual_add_f32 v2, v2, v13 :: v_dual_add_f32 v15, v28, v67
	v_add_f32_e32 v0, v0, v33
	v_dual_add_f32 v7, v8, v95 :: v_dual_add_f32 v8, v9, v100
	v_add_f32_e32 v9, v11, v105
	v_add_f32_e32 v11, v21, v110
	;; [unrolled: 1-line block ×4, first 2 shown]
	v_dual_add_f32 v29, v32, v57 :: v_dual_add_f32 v26, v30, v120
	v_add_f32_e32 v28, v31, v125
	v_dual_add_f32 v30, v34, v62 :: v_dual_add_f32 v35, v0, v35
	v_dual_add_f32 v31, v36, v130 :: v_dual_add_f32 v34, v50, v12
	;; [unrolled: 1-line block ×9, first 2 shown]
	v_add_f32_e32 v21, v14, v36
	v_fma_f32 v46, 0x3ed4b147, v25, -v78
	v_add_f32_e32 v0, v7, v96
	v_dual_add_f32 v2, v9, v106 :: v_dual_add_f32 v13, v31, v131
	v_dual_add_f32 v9, v26, v121 :: v_dual_add_f32 v24, v24, v19
	v_add_f32_e32 v26, v22, v21
	v_fma_f32 v25, 0x3f575c64, v25, -v88
	v_dual_add_f32 v8, v28, v126 :: v_dual_add_f32 v19, v39, v83
	v_dual_add_f32 v7, v15, v68 :: v_dual_add_f32 v14, v20, v27
	v_add_f32_e32 v20, v38, v46
	v_dual_add_f32 v24, v23, v24 :: v_dual_add_f32 v23, v16, v26
	v_dual_add_f32 v10, v30, v63 :: v_dual_add_f32 v15, v33, v42
	;; [unrolled: 1-line block ×3, first 2 shown]
	v_add_f32_e32 v22, v40, v25
	s_clause 0xa
	global_store_b64 v[17:18], v[8:9], off offset:3520
	global_store_b64 v[17:18], v[6:7], off offset:4400
	;; [unrolled: 1-line block ×4, first 2 shown]
	global_store_b64 v[17:18], v[23:24], off
	global_store_b64 v[17:18], v[14:15], off offset:880
	global_store_b64 v[17:18], v[12:13], off offset:1760
	;; [unrolled: 1-line block ×6, first 2 shown]
.LBB0_29:
	s_nop 0
	s_sendmsg sendmsg(MSG_DEALLOC_VGPRS)
	s_endpgm
	.section	.rodata,"a",@progbits
	.p2align	6, 0x0
	.amdhsa_kernel fft_rtc_fwd_len1210_factors_2_5_11_11_wgs_110_tpt_110_halfLds_sp_op_CI_CI_unitstride_sbrr_dirReg
		.amdhsa_group_segment_fixed_size 0
		.amdhsa_private_segment_fixed_size 0
		.amdhsa_kernarg_size 104
		.amdhsa_user_sgpr_count 2
		.amdhsa_user_sgpr_dispatch_ptr 0
		.amdhsa_user_sgpr_queue_ptr 0
		.amdhsa_user_sgpr_kernarg_segment_ptr 1
		.amdhsa_user_sgpr_dispatch_id 0
		.amdhsa_user_sgpr_private_segment_size 0
		.amdhsa_wavefront_size32 1
		.amdhsa_uses_dynamic_stack 0
		.amdhsa_enable_private_segment 0
		.amdhsa_system_sgpr_workgroup_id_x 1
		.amdhsa_system_sgpr_workgroup_id_y 0
		.amdhsa_system_sgpr_workgroup_id_z 0
		.amdhsa_system_sgpr_workgroup_info 0
		.amdhsa_system_vgpr_workitem_id 0
		.amdhsa_next_free_vgpr 137
		.amdhsa_next_free_sgpr 39
		.amdhsa_reserve_vcc 1
		.amdhsa_float_round_mode_32 0
		.amdhsa_float_round_mode_16_64 0
		.amdhsa_float_denorm_mode_32 3
		.amdhsa_float_denorm_mode_16_64 3
		.amdhsa_fp16_overflow 0
		.amdhsa_workgroup_processor_mode 1
		.amdhsa_memory_ordered 1
		.amdhsa_forward_progress 0
		.amdhsa_round_robin_scheduling 0
		.amdhsa_exception_fp_ieee_invalid_op 0
		.amdhsa_exception_fp_denorm_src 0
		.amdhsa_exception_fp_ieee_div_zero 0
		.amdhsa_exception_fp_ieee_overflow 0
		.amdhsa_exception_fp_ieee_underflow 0
		.amdhsa_exception_fp_ieee_inexact 0
		.amdhsa_exception_int_div_zero 0
	.end_amdhsa_kernel
	.text
.Lfunc_end0:
	.size	fft_rtc_fwd_len1210_factors_2_5_11_11_wgs_110_tpt_110_halfLds_sp_op_CI_CI_unitstride_sbrr_dirReg, .Lfunc_end0-fft_rtc_fwd_len1210_factors_2_5_11_11_wgs_110_tpt_110_halfLds_sp_op_CI_CI_unitstride_sbrr_dirReg
                                        ; -- End function
	.section	.AMDGPU.csdata,"",@progbits
; Kernel info:
; codeLenInByte = 9348
; NumSgprs: 41
; NumVgprs: 137
; ScratchSize: 0
; MemoryBound: 0
; FloatMode: 240
; IeeeMode: 1
; LDSByteSize: 0 bytes/workgroup (compile time only)
; SGPRBlocks: 5
; VGPRBlocks: 17
; NumSGPRsForWavesPerEU: 41
; NumVGPRsForWavesPerEU: 137
; Occupancy: 10
; WaveLimiterHint : 1
; COMPUTE_PGM_RSRC2:SCRATCH_EN: 0
; COMPUTE_PGM_RSRC2:USER_SGPR: 2
; COMPUTE_PGM_RSRC2:TRAP_HANDLER: 0
; COMPUTE_PGM_RSRC2:TGID_X_EN: 1
; COMPUTE_PGM_RSRC2:TGID_Y_EN: 0
; COMPUTE_PGM_RSRC2:TGID_Z_EN: 0
; COMPUTE_PGM_RSRC2:TIDIG_COMP_CNT: 0
	.text
	.p2alignl 7, 3214868480
	.fill 96, 4, 3214868480
	.type	__hip_cuid_5e4453489f3156f3,@object ; @__hip_cuid_5e4453489f3156f3
	.section	.bss,"aw",@nobits
	.globl	__hip_cuid_5e4453489f3156f3
__hip_cuid_5e4453489f3156f3:
	.byte	0                               ; 0x0
	.size	__hip_cuid_5e4453489f3156f3, 1

	.ident	"AMD clang version 19.0.0git (https://github.com/RadeonOpenCompute/llvm-project roc-6.4.0 25133 c7fe45cf4b819c5991fe208aaa96edf142730f1d)"
	.section	".note.GNU-stack","",@progbits
	.addrsig
	.addrsig_sym __hip_cuid_5e4453489f3156f3
	.amdgpu_metadata
---
amdhsa.kernels:
  - .args:
      - .actual_access:  read_only
        .address_space:  global
        .offset:         0
        .size:           8
        .value_kind:     global_buffer
      - .offset:         8
        .size:           8
        .value_kind:     by_value
      - .actual_access:  read_only
        .address_space:  global
        .offset:         16
        .size:           8
        .value_kind:     global_buffer
      - .actual_access:  read_only
        .address_space:  global
        .offset:         24
        .size:           8
        .value_kind:     global_buffer
      - .actual_access:  read_only
        .address_space:  global
        .offset:         32
        .size:           8
        .value_kind:     global_buffer
      - .offset:         40
        .size:           8
        .value_kind:     by_value
      - .actual_access:  read_only
        .address_space:  global
        .offset:         48
        .size:           8
        .value_kind:     global_buffer
      - .actual_access:  read_only
        .address_space:  global
        .offset:         56
        .size:           8
        .value_kind:     global_buffer
      - .offset:         64
        .size:           4
        .value_kind:     by_value
      - .actual_access:  read_only
        .address_space:  global
        .offset:         72
        .size:           8
        .value_kind:     global_buffer
      - .actual_access:  read_only
        .address_space:  global
        .offset:         80
        .size:           8
        .value_kind:     global_buffer
      - .actual_access:  read_only
        .address_space:  global
        .offset:         88
        .size:           8
        .value_kind:     global_buffer
      - .actual_access:  write_only
        .address_space:  global
        .offset:         96
        .size:           8
        .value_kind:     global_buffer
    .group_segment_fixed_size: 0
    .kernarg_segment_align: 8
    .kernarg_segment_size: 104
    .language:       OpenCL C
    .language_version:
      - 2
      - 0
    .max_flat_workgroup_size: 110
    .name:           fft_rtc_fwd_len1210_factors_2_5_11_11_wgs_110_tpt_110_halfLds_sp_op_CI_CI_unitstride_sbrr_dirReg
    .private_segment_fixed_size: 0
    .sgpr_count:     41
    .sgpr_spill_count: 0
    .symbol:         fft_rtc_fwd_len1210_factors_2_5_11_11_wgs_110_tpt_110_halfLds_sp_op_CI_CI_unitstride_sbrr_dirReg.kd
    .uniform_work_group_size: 1
    .uses_dynamic_stack: false
    .vgpr_count:     137
    .vgpr_spill_count: 0
    .wavefront_size: 32
    .workgroup_processor_mode: 1
amdhsa.target:   amdgcn-amd-amdhsa--gfx1201
amdhsa.version:
  - 1
  - 2
...

	.end_amdgpu_metadata
